;; amdgpu-corpus repo=ROCm/rocFFT kind=compiled arch=gfx906 opt=O3
	.text
	.amdgcn_target "amdgcn-amd-amdhsa--gfx906"
	.amdhsa_code_object_version 6
	.protected	fft_rtc_fwd_len140_factors_7_5_4_wgs_56_tpt_28_sp_op_CI_CI_unitstride_sbrr_C2R_dirReg ; -- Begin function fft_rtc_fwd_len140_factors_7_5_4_wgs_56_tpt_28_sp_op_CI_CI_unitstride_sbrr_C2R_dirReg
	.globl	fft_rtc_fwd_len140_factors_7_5_4_wgs_56_tpt_28_sp_op_CI_CI_unitstride_sbrr_C2R_dirReg
	.p2align	8
	.type	fft_rtc_fwd_len140_factors_7_5_4_wgs_56_tpt_28_sp_op_CI_CI_unitstride_sbrr_C2R_dirReg,@function
fft_rtc_fwd_len140_factors_7_5_4_wgs_56_tpt_28_sp_op_CI_CI_unitstride_sbrr_C2R_dirReg: ; @fft_rtc_fwd_len140_factors_7_5_4_wgs_56_tpt_28_sp_op_CI_CI_unitstride_sbrr_C2R_dirReg
; %bb.0:
	s_load_dwordx4 s[8:11], s[4:5], 0x58
	s_load_dwordx4 s[12:15], s[4:5], 0x0
	;; [unrolled: 1-line block ×3, first 2 shown]
	v_mul_u32_u24_e32 v1, 0x925, v0
	v_lshrrev_b32_e32 v7, 16, v1
	v_mov_b32_e32 v3, 0
	s_waitcnt lgkmcnt(0)
	v_cmp_lt_u64_e64 s[0:1], s[14:15], 2
	v_mov_b32_e32 v1, 0
	v_lshl_add_u32 v5, s6, 1, v7
	v_mov_b32_e32 v6, v3
	s_and_b64 vcc, exec, s[0:1]
	v_mov_b32_e32 v2, 0
	s_cbranch_vccnz .LBB0_8
; %bb.1:
	s_load_dwordx2 s[0:1], s[4:5], 0x10
	s_add_u32 s2, s18, 8
	s_addc_u32 s3, s19, 0
	s_add_u32 s6, s16, 8
	v_mov_b32_e32 v1, 0
	s_addc_u32 s7, s17, 0
	v_mov_b32_e32 v2, 0
	s_waitcnt lgkmcnt(0)
	s_add_u32 s20, s0, 8
	v_mov_b32_e32 v13, v2
	s_addc_u32 s21, s1, 0
	s_mov_b64 s[22:23], 1
	v_mov_b32_e32 v12, v1
.LBB0_2:                                ; =>This Inner Loop Header: Depth=1
	s_load_dwordx2 s[24:25], s[20:21], 0x0
                                        ; implicit-def: $vgpr14_vgpr15
	s_waitcnt lgkmcnt(0)
	v_or_b32_e32 v4, s25, v6
	v_cmp_ne_u64_e32 vcc, 0, v[3:4]
	s_and_saveexec_b64 s[0:1], vcc
	s_xor_b64 s[26:27], exec, s[0:1]
	s_cbranch_execz .LBB0_4
; %bb.3:                                ;   in Loop: Header=BB0_2 Depth=1
	v_cvt_f32_u32_e32 v4, s24
	v_cvt_f32_u32_e32 v8, s25
	s_sub_u32 s0, 0, s24
	s_subb_u32 s1, 0, s25
	v_mac_f32_e32 v4, 0x4f800000, v8
	v_rcp_f32_e32 v4, v4
	v_mul_f32_e32 v4, 0x5f7ffffc, v4
	v_mul_f32_e32 v8, 0x2f800000, v4
	v_trunc_f32_e32 v8, v8
	v_mac_f32_e32 v4, 0xcf800000, v8
	v_cvt_u32_f32_e32 v8, v8
	v_cvt_u32_f32_e32 v4, v4
	v_mul_lo_u32 v9, s0, v8
	v_mul_hi_u32 v10, s0, v4
	v_mul_lo_u32 v14, s1, v4
	v_mul_lo_u32 v11, s0, v4
	v_add_u32_e32 v9, v10, v9
	v_add_u32_e32 v9, v9, v14
	v_mul_hi_u32 v10, v4, v11
	v_mul_lo_u32 v14, v4, v9
	v_mul_hi_u32 v16, v4, v9
	v_mul_hi_u32 v15, v8, v11
	v_mul_lo_u32 v11, v8, v11
	v_mul_hi_u32 v17, v8, v9
	v_add_co_u32_e32 v10, vcc, v10, v14
	v_addc_co_u32_e32 v14, vcc, 0, v16, vcc
	v_mul_lo_u32 v9, v8, v9
	v_add_co_u32_e32 v10, vcc, v10, v11
	v_addc_co_u32_e32 v10, vcc, v14, v15, vcc
	v_addc_co_u32_e32 v11, vcc, 0, v17, vcc
	v_add_co_u32_e32 v9, vcc, v10, v9
	v_addc_co_u32_e32 v10, vcc, 0, v11, vcc
	v_add_co_u32_e32 v4, vcc, v4, v9
	v_addc_co_u32_e32 v8, vcc, v8, v10, vcc
	v_mul_lo_u32 v9, s0, v8
	v_mul_hi_u32 v10, s0, v4
	v_mul_lo_u32 v11, s1, v4
	v_mul_lo_u32 v14, s0, v4
	v_add_u32_e32 v9, v10, v9
	v_add_u32_e32 v9, v9, v11
	v_mul_lo_u32 v15, v4, v9
	v_mul_hi_u32 v16, v4, v14
	v_mul_hi_u32 v17, v4, v9
	;; [unrolled: 1-line block ×3, first 2 shown]
	v_mul_lo_u32 v14, v8, v14
	v_mul_hi_u32 v10, v8, v9
	v_add_co_u32_e32 v15, vcc, v16, v15
	v_addc_co_u32_e32 v16, vcc, 0, v17, vcc
	v_mul_lo_u32 v9, v8, v9
	v_add_co_u32_e32 v14, vcc, v15, v14
	v_addc_co_u32_e32 v11, vcc, v16, v11, vcc
	v_addc_co_u32_e32 v10, vcc, 0, v10, vcc
	v_add_co_u32_e32 v9, vcc, v11, v9
	v_addc_co_u32_e32 v10, vcc, 0, v10, vcc
	v_add_co_u32_e32 v4, vcc, v4, v9
	v_addc_co_u32_e32 v10, vcc, v8, v10, vcc
	v_mad_u64_u32 v[8:9], s[0:1], v5, v10, 0
	v_mul_hi_u32 v11, v5, v4
	v_add_co_u32_e32 v14, vcc, v11, v8
	v_addc_co_u32_e32 v15, vcc, 0, v9, vcc
	v_mad_u64_u32 v[8:9], s[0:1], v6, v4, 0
	v_mad_u64_u32 v[10:11], s[0:1], v6, v10, 0
	v_add_co_u32_e32 v4, vcc, v14, v8
	v_addc_co_u32_e32 v4, vcc, v15, v9, vcc
	v_addc_co_u32_e32 v8, vcc, 0, v11, vcc
	v_add_co_u32_e32 v4, vcc, v4, v10
	v_addc_co_u32_e32 v10, vcc, 0, v8, vcc
	v_mul_lo_u32 v11, s25, v4
	v_mul_lo_u32 v14, s24, v10
	v_mad_u64_u32 v[8:9], s[0:1], s24, v4, 0
	v_add3_u32 v9, v9, v14, v11
	v_sub_u32_e32 v11, v6, v9
	v_mov_b32_e32 v14, s25
	v_sub_co_u32_e32 v8, vcc, v5, v8
	v_subb_co_u32_e64 v11, s[0:1], v11, v14, vcc
	v_subrev_co_u32_e64 v14, s[0:1], s24, v8
	v_subbrev_co_u32_e64 v11, s[0:1], 0, v11, s[0:1]
	v_cmp_le_u32_e64 s[0:1], s25, v11
	v_cndmask_b32_e64 v15, 0, -1, s[0:1]
	v_cmp_le_u32_e64 s[0:1], s24, v14
	v_cndmask_b32_e64 v14, 0, -1, s[0:1]
	v_cmp_eq_u32_e64 s[0:1], s25, v11
	v_cndmask_b32_e64 v11, v15, v14, s[0:1]
	v_add_co_u32_e64 v14, s[0:1], 2, v4
	v_addc_co_u32_e64 v15, s[0:1], 0, v10, s[0:1]
	v_add_co_u32_e64 v16, s[0:1], 1, v4
	v_addc_co_u32_e64 v17, s[0:1], 0, v10, s[0:1]
	v_subb_co_u32_e32 v9, vcc, v6, v9, vcc
	v_cmp_ne_u32_e64 s[0:1], 0, v11
	v_cmp_le_u32_e32 vcc, s25, v9
	v_cndmask_b32_e64 v11, v17, v15, s[0:1]
	v_cndmask_b32_e64 v15, 0, -1, vcc
	v_cmp_le_u32_e32 vcc, s24, v8
	v_cndmask_b32_e64 v8, 0, -1, vcc
	v_cmp_eq_u32_e32 vcc, s25, v9
	v_cndmask_b32_e32 v8, v15, v8, vcc
	v_cmp_ne_u32_e32 vcc, 0, v8
	v_cndmask_b32_e64 v8, v16, v14, s[0:1]
	v_cndmask_b32_e32 v15, v10, v11, vcc
	v_cndmask_b32_e32 v14, v4, v8, vcc
.LBB0_4:                                ;   in Loop: Header=BB0_2 Depth=1
	s_andn2_saveexec_b64 s[0:1], s[26:27]
	s_cbranch_execz .LBB0_6
; %bb.5:                                ;   in Loop: Header=BB0_2 Depth=1
	v_cvt_f32_u32_e32 v4, s24
	s_sub_i32 s26, 0, s24
	v_mov_b32_e32 v15, v3
	v_rcp_iflag_f32_e32 v4, v4
	v_mul_f32_e32 v4, 0x4f7ffffe, v4
	v_cvt_u32_f32_e32 v4, v4
	v_mul_lo_u32 v8, s26, v4
	v_mul_hi_u32 v8, v4, v8
	v_add_u32_e32 v4, v4, v8
	v_mul_hi_u32 v4, v5, v4
	v_mul_lo_u32 v8, v4, s24
	v_add_u32_e32 v9, 1, v4
	v_sub_u32_e32 v8, v5, v8
	v_subrev_u32_e32 v10, s24, v8
	v_cmp_le_u32_e32 vcc, s24, v8
	v_cndmask_b32_e32 v8, v8, v10, vcc
	v_cndmask_b32_e32 v4, v4, v9, vcc
	v_add_u32_e32 v9, 1, v4
	v_cmp_le_u32_e32 vcc, s24, v8
	v_cndmask_b32_e32 v14, v4, v9, vcc
.LBB0_6:                                ;   in Loop: Header=BB0_2 Depth=1
	s_or_b64 exec, exec, s[0:1]
	v_mul_lo_u32 v4, v15, s24
	v_mul_lo_u32 v10, v14, s25
	v_mad_u64_u32 v[8:9], s[0:1], v14, s24, 0
	s_load_dwordx2 s[0:1], s[6:7], 0x0
	s_load_dwordx2 s[24:25], s[2:3], 0x0
	v_add3_u32 v4, v9, v10, v4
	v_sub_co_u32_e32 v5, vcc, v5, v8
	v_subb_co_u32_e32 v4, vcc, v6, v4, vcc
	s_waitcnt lgkmcnt(0)
	v_mul_lo_u32 v6, s0, v4
	v_mul_lo_u32 v8, s1, v5
	v_mad_u64_u32 v[1:2], s[0:1], s0, v5, v[1:2]
	v_mul_lo_u32 v4, s24, v4
	v_mul_lo_u32 v9, s25, v5
	v_mad_u64_u32 v[12:13], s[0:1], s24, v5, v[12:13]
	s_add_u32 s22, s22, 1
	s_addc_u32 s23, s23, 0
	s_add_u32 s2, s2, 8
	v_add3_u32 v13, v9, v13, v4
	s_addc_u32 s3, s3, 0
	v_mov_b32_e32 v4, s14
	s_add_u32 s6, s6, 8
	v_mov_b32_e32 v5, s15
	s_addc_u32 s7, s7, 0
	v_cmp_ge_u64_e32 vcc, s[22:23], v[4:5]
	s_add_u32 s20, s20, 8
	v_add3_u32 v2, v8, v2, v6
	s_addc_u32 s21, s21, 0
	s_cbranch_vccnz .LBB0_9
; %bb.7:                                ;   in Loop: Header=BB0_2 Depth=1
	v_mov_b32_e32 v5, v14
	v_mov_b32_e32 v6, v15
	s_branch .LBB0_2
.LBB0_8:
	v_mov_b32_e32 v13, v2
	v_mov_b32_e32 v15, v6
	;; [unrolled: 1-line block ×4, first 2 shown]
.LBB0_9:
	s_load_dwordx2 s[2:3], s[4:5], 0x28
	s_lshl_b64 s[6:7], s[14:15], 3
	s_add_u32 s14, s18, s6
	v_and_b32_e32 v3, 1, v7
	s_addc_u32 s15, s19, s7
	s_waitcnt lgkmcnt(0)
	v_cmp_gt_u64_e32 vcc, s[2:3], v[14:15]
	v_cmp_le_u64_e64 s[2:3], s[2:3], v[14:15]
	v_cmp_eq_u32_e64 s[0:1], 1, v3
	v_mov_b32_e32 v3, 0x8d
                                        ; implicit-def: $vgpr16
	s_and_saveexec_b64 s[4:5], s[2:3]
	s_xor_b64 s[2:3], exec, s[4:5]
; %bb.10:
	s_mov_b32 s4, 0x924924a
	v_mul_hi_u32 v1, v0, s4
	v_mul_u32_u24_e32 v1, 28, v1
	v_sub_u32_e32 v16, v0, v1
                                        ; implicit-def: $vgpr0
                                        ; implicit-def: $vgpr1_vgpr2
; %bb.11:
	s_or_saveexec_b64 s[4:5], s[2:3]
	s_load_dwordx2 s[2:3], s[14:15], 0x0
	v_cndmask_b32_e64 v4, 0, v3, s[0:1]
	v_lshlrev_b32_e32 v6, 3, v4
	s_xor_b64 exec, exec, s[4:5]
	s_cbranch_execz .LBB0_15
; %bb.12:
	s_add_u32 s0, s16, s6
	s_addc_u32 s1, s17, s7
	s_load_dwordx2 s[0:1], s[0:1], 0x0
	s_mov_b32 s6, 0x924924a
	v_mul_hi_u32 v3, v0, s6
	s_waitcnt lgkmcnt(0)
	v_mul_lo_u32 v5, s1, v14
	v_mul_lo_u32 v9, s0, v15
	v_mad_u64_u32 v[7:8], s[0:1], s0, v14, 0
	v_mul_u32_u24_e32 v3, 28, v3
	v_sub_u32_e32 v16, v0, v3
	v_add3_u32 v8, v8, v9, v5
	v_lshlrev_b64 v[7:8], 3, v[7:8]
	v_mov_b32_e32 v0, s9
	v_add_co_u32_e64 v3, s[0:1], s8, v7
	v_addc_co_u32_e64 v5, s[0:1], v0, v8, s[0:1]
	v_lshlrev_b64 v[0:1], 3, v[1:2]
	v_add_co_u32_e64 v0, s[0:1], v3, v0
	v_addc_co_u32_e64 v1, s[0:1], v5, v1, s[0:1]
	v_lshlrev_b32_e32 v5, 3, v16
	v_add_co_u32_e64 v2, s[0:1], v0, v5
	v_addc_co_u32_e64 v3, s[0:1], 0, v1, s[0:1]
	global_load_dwordx2 v[7:8], v[2:3], off
	global_load_dwordx2 v[9:10], v[2:3], off offset:224
	global_load_dwordx2 v[17:18], v[2:3], off offset:448
	;; [unrolled: 1-line block ×4, first 2 shown]
	v_add3_u32 v2, 0, v6, v5
	v_cmp_eq_u32_e64 s[0:1], 27, v16
	s_waitcnt vmcnt(3)
	ds_write2_b64 v2, v[7:8], v[9:10] offset1:28
	s_waitcnt vmcnt(1)
	ds_write2_b64 v2, v[17:18], v[19:20] offset0:56 offset1:84
	s_waitcnt vmcnt(0)
	ds_write_b64 v2, v[21:22] offset:896
	s_and_saveexec_b64 s[6:7], s[0:1]
	s_cbranch_execz .LBB0_14
; %bb.13:
	global_load_dwordx2 v[0:1], v[0:1], off offset:1120
	v_mov_b32_e32 v16, 27
	s_waitcnt vmcnt(0)
	ds_write_b64 v2, v[0:1] offset:904
.LBB0_14:
	s_or_b64 exec, exec, s[6:7]
.LBB0_15:
	s_or_b64 exec, exec, s[4:5]
	v_lshl_add_u32 v21, v4, 3, 0
	v_lshlrev_b32_e32 v0, 3, v16
	v_add_u32_e32 v7, v21, v0
	s_waitcnt lgkmcnt(0)
	; wave barrier
	s_waitcnt lgkmcnt(0)
	v_sub_u32_e32 v5, v21, v0
	ds_read_b32 v1, v7
	ds_read_b32 v2, v5 offset:1120
	v_cmp_ne_u32_e64 s[0:1], 0, v16
	s_waitcnt lgkmcnt(0)
	v_add_f32_e32 v0, v2, v1
	v_sub_f32_e32 v1, v1, v2
                                        ; implicit-def: $vgpr2_vgpr3
	s_and_saveexec_b64 s[4:5], s[0:1]
	s_xor_b64 s[4:5], exec, s[4:5]
	s_cbranch_execz .LBB0_17
; %bb.16:
	v_mov_b32_e32 v17, 0
	v_lshlrev_b64 v[2:3], 3, v[16:17]
	v_mov_b32_e32 v8, s13
	v_add_co_u32_e64 v2, s[0:1], s12, v2
	v_addc_co_u32_e64 v3, s[0:1], v8, v3, s[0:1]
	global_load_dwordx2 v[2:3], v[2:3], off offset:1064
	ds_read_b32 v8, v5 offset:1124
	ds_read_b32 v9, v7 offset:4
	s_waitcnt lgkmcnt(0)
	v_add_f32_e32 v18, v8, v9
	v_sub_f32_e32 v8, v9, v8
	s_waitcnt vmcnt(0)
	v_fma_f32 v19, v1, v3, v0
	v_fma_f32 v9, v18, v3, v8
	v_fma_f32 v10, -v1, v3, v0
	v_fma_f32 v11, v18, v3, -v8
	v_fma_f32 v8, -v2, v18, v19
	v_fmac_f32_e32 v9, v1, v2
	v_fmac_f32_e32 v10, v2, v18
	;; [unrolled: 1-line block ×3, first 2 shown]
	v_mov_b32_e32 v2, v16
	ds_write_b64 v7, v[8:9]
	ds_write_b64 v5, v[10:11] offset:1120
	v_mov_b32_e32 v3, v17
                                        ; implicit-def: $vgpr0
.LBB0_17:
	s_andn2_saveexec_b64 s[0:1], s[4:5]
	s_cbranch_execz .LBB0_19
; %bb.18:
	ds_write_b64 v7, v[0:1]
	ds_read_b64 v[0:1], v21 offset:560
	v_mov_b32_e32 v2, 0
	v_mov_b32_e32 v3, 0
	s_waitcnt lgkmcnt(0)
	v_add_f32_e32 v0, v0, v0
	v_mul_f32_e32 v1, -2.0, v1
	ds_write_b64 v21, v[0:1] offset:560
.LBB0_19:
	s_or_b64 exec, exec, s[0:1]
	s_add_u32 s0, s12, 0x428
	v_lshlrev_b64 v[0:1], 3, v[2:3]
	s_addc_u32 s1, s13, 0
	v_mov_b32_e32 v2, s1
	v_add_co_u32_e64 v0, s[0:1], s0, v0
	v_addc_co_u32_e64 v1, s[0:1], v2, v1, s[0:1]
	global_load_dwordx2 v[2:3], v[0:1], off offset:224
	ds_read_b64 v[8:9], v7 offset:224
	ds_read_b64 v[10:11], v5 offset:896
	v_cmp_gt_u32_e64 s[0:1], 14, v16
	s_waitcnt lgkmcnt(0)
	v_add_f32_e32 v17, v8, v10
	v_add_f32_e32 v18, v11, v9
	v_sub_f32_e32 v19, v8, v10
	v_sub_f32_e32 v8, v9, v11
	s_waitcnt vmcnt(0)
	v_fma_f32 v20, v19, v3, v17
	v_fma_f32 v9, v18, v3, v8
	v_fma_f32 v10, -v19, v3, v17
	v_fma_f32 v11, v18, v3, -v8
	v_fma_f32 v8, -v2, v18, v20
	v_fmac_f32_e32 v9, v19, v2
	v_fmac_f32_e32 v10, v2, v18
	v_fmac_f32_e32 v11, v19, v2
	ds_write_b64 v7, v[8:9] offset:224
	ds_write_b64 v5, v[10:11] offset:896
	s_and_saveexec_b64 s[4:5], s[0:1]
	s_cbranch_execz .LBB0_21
; %bb.20:
	global_load_dwordx2 v[0:1], v[0:1], off offset:448
	ds_read_b64 v[2:3], v7 offset:448
	ds_read_b64 v[8:9], v5 offset:672
	s_waitcnt lgkmcnt(0)
	v_add_f32_e32 v10, v2, v8
	v_add_f32_e32 v11, v9, v3
	v_sub_f32_e32 v17, v2, v8
	v_sub_f32_e32 v3, v3, v9
	s_waitcnt vmcnt(0)
	v_fma_f32 v18, v17, v1, v10
	v_fma_f32 v2, v11, v1, v3
	v_fma_f32 v8, -v17, v1, v10
	v_fma_f32 v9, v11, v1, -v3
	v_fma_f32 v1, -v0, v11, v18
	v_fmac_f32_e32 v2, v17, v0
	v_fmac_f32_e32 v8, v0, v11
	;; [unrolled: 1-line block ×3, first 2 shown]
	ds_write_b64 v7, v[1:2] offset:448
	ds_write_b64 v5, v[8:9] offset:672
.LBB0_21:
	s_or_b64 exec, exec, s[4:5]
	v_lshl_add_u32 v8, v16, 3, 0
	v_lshl_add_u32 v22, v4, 3, v8
	s_waitcnt lgkmcnt(0)
	; wave barrier
	s_waitcnt lgkmcnt(0)
	s_waitcnt lgkmcnt(0)
	; wave barrier
	s_waitcnt lgkmcnt(0)
	ds_read2_b64 v[0:3], v22 offset0:20 offset1:40
	ds_read2_b64 v[17:20], v22 offset0:100 offset1:120
	;; [unrolled: 1-line block ×3, first 2 shown]
	s_mov_b32 s0, 0xbf3bfb3b
	s_waitcnt lgkmcnt(1)
	v_add_f32_e32 v4, v0, v19
	v_add_f32_e32 v5, v1, v20
	v_sub_f32_e32 v27, v0, v19
	v_sub_f32_e32 v20, v1, v20
	ds_read_b64 v[0:1], v7
	v_add_f32_e32 v10, v2, v17
	v_add_f32_e32 v19, v3, v18
	s_waitcnt lgkmcnt(1)
	v_add_f32_e32 v11, v23, v25
	v_add_f32_e32 v9, v10, v4
	v_sub_f32_e32 v2, v2, v17
	v_sub_f32_e32 v3, v3, v18
	v_add_f32_e32 v17, v24, v26
	v_sub_f32_e32 v18, v25, v23
	v_sub_f32_e32 v23, v26, v24
	v_add_f32_e32 v24, v19, v5
	v_add_f32_e32 v25, v11, v9
	;; [unrolled: 1-line block ×3, first 2 shown]
	s_waitcnt lgkmcnt(0)
	v_add_f32_e32 v0, v0, v25
	v_sub_f32_e32 v9, v10, v4
	v_sub_f32_e32 v4, v4, v11
	;; [unrolled: 1-line block ×6, first 2 shown]
	v_add_f32_e32 v17, v18, v2
	v_sub_f32_e32 v26, v18, v2
	v_sub_f32_e32 v30, v27, v18
	v_add_f32_e32 v18, v23, v3
	v_add_f32_e32 v1, v1, v24
	v_sub_f32_e32 v2, v2, v27
	v_add_f32_e32 v17, v17, v27
	v_sub_f32_e32 v27, v23, v3
	v_sub_f32_e32 v32, v20, v23
	;; [unrolled: 1-line block ×3, first 2 shown]
	v_add_f32_e32 v20, v18, v20
	v_mov_b32_e32 v18, v0
	v_fmac_f32_e32 v18, 0xbf955555, v25
	v_mov_b32_e32 v28, v1
	v_mul_f32_e32 v4, 0x3f4a47b2, v4
	v_mul_f32_e32 v5, 0x3f4a47b2, v5
	v_mul_f32_e32 v25, 0xbf08b237, v26
	v_mul_f32_e32 v23, 0xbf08b237, v27
	v_fmac_f32_e32 v28, 0xbf955555, v24
	v_mul_f32_e32 v29, 0x3f5ff5aa, v2
	v_mul_f32_e32 v26, 0x3f5ff5aa, v3
	v_fma_f32 v2, v9, s0, -v4
	v_fma_f32 v3, v11, s0, -v5
	v_mov_b32_e32 v24, v25
	v_mov_b32_e32 v27, v23
	s_mov_b32 s0, 0xbeae86e6
	v_fmac_f32_e32 v4, 0x3d64c772, v10
	v_fmac_f32_e32 v5, 0x3d64c772, v19
	;; [unrolled: 1-line block ×4, first 2 shown]
	v_fma_f32 v31, v30, s0, -v29
	v_fma_f32 v32, v32, s0, -v26
	v_add_f32_e32 v30, v4, v18
	v_add_f32_e32 v33, v5, v28
	v_add_f32_e32 v34, v2, v18
	v_add_f32_e32 v35, v3, v28
	v_fmac_f32_e32 v24, 0x3ee1c552, v17
	v_fmac_f32_e32 v27, 0x3ee1c552, v20
	v_fmac_f32_e32 v31, 0x3ee1c552, v17
	v_fmac_f32_e32 v32, 0x3ee1c552, v20
	v_sub_f32_e32 v2, v34, v32
	v_add_f32_e32 v3, v31, v35
	v_sub_f32_e32 v4, v30, v27
	v_add_f32_e32 v5, v24, v33
	v_cmp_gt_u32_e64 s[0:1], 20, v16
	s_waitcnt lgkmcnt(0)
	; wave barrier
	s_and_saveexec_b64 s[4:5], s[0:1]
	s_cbranch_execz .LBB0_23
; %bb.22:
	v_mul_f32_e32 v19, 0x3d64c772, v19
	v_mul_f32_e32 v11, 0x3f3bfb3b, v11
	v_sub_f32_e32 v11, v11, v19
	v_mul_f32_e32 v19, 0x3d64c772, v10
	v_mul_f32_e32 v9, 0x3f3bfb3b, v9
	;; [unrolled: 1-line block ×4, first 2 shown]
	v_sub_f32_e32 v20, v29, v25
	v_add_f32_e32 v11, v11, v28
	v_add_f32_e32 v20, v10, v20
	v_sub_f32_e32 v9, v9, v19
	v_sub_f32_e32 v10, v11, v20
	;; [unrolled: 1-line block ×3, first 2 shown]
	v_add_f32_e32 v19, v9, v18
	v_add_f32_e32 v18, v20, v11
	v_mul_u32_u24_e32 v11, 48, v16
	v_add_f32_e32 v17, v17, v23
	v_sub_f32_e32 v24, v33, v24
	v_add_f32_e32 v23, v30, v27
	v_add3_u32 v8, v8, v11, v6
	v_add_f32_e32 v9, v17, v19
	v_sub_f32_e32 v17, v19, v17
	v_sub_f32_e32 v20, v35, v31
	v_add_f32_e32 v19, v32, v34
	ds_write2_b64 v8, v[0:1], v[23:24] offset1:1
	ds_write2_b64 v8, v[19:20], v[17:18] offset0:2 offset1:3
	ds_write2_b64 v8, v[9:10], v[2:3] offset0:4 offset1:5
	ds_write_b64 v8, v[4:5] offset:48
.LBB0_23:
	s_or_b64 exec, exec, s[4:5]
	v_mov_b32_e32 v0, 37
	v_mul_lo_u16_sdwa v0, v16, v0 dst_sel:DWORD dst_unused:UNUSED_PAD src0_sel:BYTE_0 src1_sel:DWORD
	v_sub_u16_sdwa v1, v16, v0 dst_sel:DWORD dst_unused:UNUSED_PAD src0_sel:DWORD src1_sel:BYTE_1
	v_lshrrev_b16_e32 v1, 1, v1
	v_and_b32_e32 v1, 0x7f, v1
	v_add_u16_sdwa v0, v1, v0 dst_sel:DWORD dst_unused:UNUSED_PAD src0_sel:DWORD src1_sel:BYTE_1
	v_lshrrev_b16_e32 v0, 2, v0
	v_mul_lo_u16_e32 v1, 7, v0
	v_sub_u16_e32 v33, v16, v1
	v_mov_b32_e32 v1, 5
	v_lshlrev_b32_sdwa v1, v1, v33 dst_sel:DWORD dst_unused:UNUSED_PAD src0_sel:DWORD src1_sel:BYTE_0
	s_waitcnt lgkmcnt(0)
	; wave barrier
	s_waitcnt lgkmcnt(0)
	global_load_dwordx4 v[8:11], v1, s[12:13]
	global_load_dwordx4 v[17:20], v1, s[12:13] offset:16
	ds_read2_b64 v[23:26], v22 offset0:28 offset1:56
	ds_read2_b32 v[31:32], v7 offset1:1
	ds_read2_b64 v[27:30], v22 offset0:84 offset1:112
	s_movk_i32 s0, 0x118
	v_mad_u32_u24 v34, v0, s0, 0
	s_waitcnt lgkmcnt(0)
	; wave barrier
	s_waitcnt lgkmcnt(0)
	v_cmp_gt_u32_e64 s[0:1], 7, v16
	s_waitcnt vmcnt(1)
	v_mul_f32_e32 v0, v9, v24
	v_mul_f32_e32 v1, v9, v23
	;; [unrolled: 1-line block ×4, first 2 shown]
	s_waitcnt vmcnt(0)
	v_mul_f32_e32 v35, v18, v28
	v_mul_f32_e32 v18, v18, v27
	v_mul_f32_e32 v36, v20, v30
	v_mul_f32_e32 v20, v20, v29
	v_fmac_f32_e32 v1, v8, v24
	v_fmac_f32_e32 v11, v10, v26
	;; [unrolled: 1-line block ×4, first 2 shown]
	v_fma_f32 v0, v8, v23, -v0
	v_fma_f32 v8, v10, v25, -v9
	;; [unrolled: 1-line block ×3, first 2 shown]
	v_add_f32_e32 v35, v11, v18
	v_add_f32_e32 v41, v1, v20
	v_fma_f32 v17, v19, v29, -v36
	v_add_f32_e32 v10, v0, v31
	v_sub_f32_e32 v23, v1, v20
	v_add_f32_e32 v30, v32, v1
	v_sub_f32_e32 v38, v1, v11
	v_sub_f32_e32 v40, v11, v1
	v_fma_f32 v1, -0.5, v35, v32
	v_fmac_f32_e32 v32, -0.5, v41
	v_add_f32_e32 v19, v8, v9
	v_sub_f32_e32 v24, v11, v18
	v_sub_f32_e32 v25, v0, v8
	v_add_f32_e32 v27, v0, v17
	v_sub_f32_e32 v28, v8, v0
	v_sub_f32_e32 v37, v8, v9
	v_add_f32_e32 v8, v10, v8
	v_add_f32_e32 v10, v30, v11
	v_mov_b32_e32 v11, v32
	v_sub_f32_e32 v26, v17, v9
	v_sub_f32_e32 v29, v9, v17
	;; [unrolled: 1-line block ×3, first 2 shown]
	v_fma_f32 v0, -0.5, v19, v31
	v_sub_f32_e32 v19, v18, v20
	v_fma_f32 v31, -0.5, v27, v31
	v_fmac_f32_e32 v32, 0xbf737871, v37
	v_fmac_f32_e32 v11, 0x3f737871, v37
	v_sub_f32_e32 v39, v20, v18
	v_add_f32_e32 v25, v25, v26
	v_add_f32_e32 v26, v28, v29
	v_add_f32_e32 v19, v40, v19
	v_add_f32_e32 v28, v8, v9
	v_mov_b32_e32 v8, v0
	v_add_f32_e32 v18, v10, v18
	v_mov_b32_e32 v10, v31
	v_mov_b32_e32 v9, v1
	v_fmac_f32_e32 v32, 0x3f167918, v36
	v_fmac_f32_e32 v11, 0xbf167918, v36
	;; [unrolled: 1-line block ×7, first 2 shown]
	v_mov_b32_e32 v19, 3
	v_add_f32_e32 v27, v38, v39
	v_fmac_f32_e32 v0, 0xbf737871, v23
	v_fmac_f32_e32 v31, 0x3f737871, v24
	;; [unrolled: 1-line block ×6, first 2 shown]
	v_lshlrev_b32_sdwa v19, v19, v33 dst_sel:DWORD dst_unused:UNUSED_PAD src0_sel:DWORD src1_sel:BYTE_0
	v_add_f32_e32 v17, v28, v17
	v_fmac_f32_e32 v0, 0xbf167918, v24
	v_fmac_f32_e32 v31, 0xbf167918, v23
	v_add_f32_e32 v18, v18, v20
	v_fmac_f32_e32 v1, 0x3f167918, v37
	v_fmac_f32_e32 v8, 0x3e9e377a, v25
	;; [unrolled: 1-line block ×4, first 2 shown]
	v_add3_u32 v6, v34, v19, v6
	v_fmac_f32_e32 v0, 0x3e9e377a, v25
	v_fmac_f32_e32 v31, 0x3e9e377a, v26
	v_fmac_f32_e32 v1, 0x3e9e377a, v27
	ds_write2_b64 v6, v[17:18], v[8:9] offset1:7
	ds_write2_b64 v6, v[10:11], v[31:32] offset0:14 offset1:21
	ds_write_b64 v6, v[0:1] offset:224
	s_waitcnt lgkmcnt(0)
	; wave barrier
	s_waitcnt lgkmcnt(0)
	ds_read2_b64 v[8:11], v22 offset0:35 offset1:70
	ds_read_b64 v[17:18], v7
	ds_read_b64 v[19:20], v22 offset:840
	s_and_saveexec_b64 s[4:5], s[0:1]
	s_cbranch_execz .LBB0_25
; %bb.24:
	ds_read2_b64 v[0:3], v22 offset0:28 offset1:63
	ds_read2_b64 v[4:7], v22 offset0:98 offset1:133
.LBB0_25:
	s_or_b64 exec, exec, s[4:5]
	v_mul_u32_u24_e32 v23, 3, v16
	v_lshlrev_b32_e32 v29, 3, v23
	global_load_dwordx4 v[23:26], v29, s[12:13] offset:224
	global_load_dwordx2 v[27:28], v29, s[12:13] offset:240
	s_waitcnt lgkmcnt(0)
	; wave barrier
	s_waitcnt vmcnt(1) lgkmcnt(0)
	v_mul_f32_e32 v29, v24, v9
	v_mul_f32_e32 v24, v24, v8
	v_mul_f32_e32 v30, v26, v11
	v_mul_f32_e32 v26, v26, v10
	s_waitcnt vmcnt(0)
	v_mul_f32_e32 v31, v28, v20
	v_mul_f32_e32 v28, v28, v19
	v_fma_f32 v8, v23, v8, -v29
	v_fmac_f32_e32 v24, v23, v9
	v_fma_f32 v9, v25, v10, -v30
	v_fmac_f32_e32 v26, v25, v11
	;; [unrolled: 2-line block ×3, first 2 shown]
	v_sub_f32_e32 v19, v17, v9
	v_sub_f32_e32 v20, v18, v26
	;; [unrolled: 1-line block ×4, first 2 shown]
	v_fma_f32 v23, v17, 2.0, -v19
	v_fma_f32 v25, v18, 2.0, -v20
	;; [unrolled: 1-line block ×4, first 2 shown]
	v_sub_f32_e32 v8, v19, v10
	v_add_f32_e32 v9, v20, v9
	v_sub_f32_e32 v10, v23, v11
	v_sub_f32_e32 v11, v25, v17
	v_fma_f32 v17, v19, 2.0, -v8
	v_fma_f32 v18, v20, 2.0, -v9
	;; [unrolled: 1-line block ×4, first 2 shown]
	ds_write2_b64 v22, v[19:20], v[17:18] offset1:35
	ds_write2_b64 v22, v[10:11], v[8:9] offset0:70 offset1:105
	s_and_saveexec_b64 s[4:5], s[0:1]
	s_cbranch_execz .LBB0_27
; %bb.26:
	v_add_u32_e32 v8, 28, v16
	v_add_u32_e32 v9, -7, v16
	v_cndmask_b32_e64 v8, v9, v8, s[0:1]
	v_mul_i32_i24_e32 v8, 3, v8
	v_mov_b32_e32 v9, 0
	v_lshlrev_b64 v[8:9], 3, v[8:9]
	v_mov_b32_e32 v10, s13
	v_add_co_u32_e64 v17, s[0:1], s12, v8
	v_addc_co_u32_e64 v18, s[0:1], v10, v9, s[0:1]
	global_load_dwordx4 v[8:11], v[17:18], off offset:224
	global_load_dwordx2 v[19:20], v[17:18], off offset:240
	s_waitcnt vmcnt(1)
	v_mul_f32_e32 v17, v4, v11
	v_mul_f32_e32 v18, v3, v9
	s_waitcnt vmcnt(0)
	v_mul_f32_e32 v23, v7, v20
	v_mul_f32_e32 v11, v5, v11
	;; [unrolled: 1-line block ×4, first 2 shown]
	v_fmac_f32_e32 v17, v5, v10
	v_fma_f32 v5, v2, v8, -v18
	v_fma_f32 v2, v6, v19, -v23
	;; [unrolled: 1-line block ×3, first 2 shown]
	v_fmac_f32_e32 v9, v3, v8
	v_fmac_f32_e32 v20, v7, v19
	v_sub_f32_e32 v6, v1, v17
	v_sub_f32_e32 v7, v5, v2
	;; [unrolled: 1-line block ×4, first 2 shown]
	v_add_f32_e32 v3, v6, v7
	v_sub_f32_e32 v2, v4, v8
	v_fma_f32 v10, v1, 2.0, -v6
	v_fma_f32 v8, v9, 2.0, -v8
	;; [unrolled: 1-line block ×5, first 2 shown]
	v_sub_f32_e32 v5, v10, v8
	v_sub_f32_e32 v4, v9, v7
	v_fma_f32 v1, v6, 2.0, -v3
	v_fma_f32 v7, v10, 2.0, -v5
	v_fma_f32 v6, v9, 2.0, -v4
	ds_write2_b64 v22, v[6:7], v[0:1] offset0:28 offset1:63
	ds_write2_b64 v22, v[4:5], v[2:3] offset0:98 offset1:133
.LBB0_27:
	s_or_b64 exec, exec, s[4:5]
	s_waitcnt lgkmcnt(0)
	; wave barrier
	s_waitcnt lgkmcnt(0)
	s_and_saveexec_b64 s[0:1], vcc
	s_cbranch_execz .LBB0_29
; %bb.28:
	v_mul_lo_u32 v0, s3, v14
	v_mul_lo_u32 v1, s2, v15
	v_mad_u64_u32 v[4:5], s[0:1], s2, v14, 0
	v_mov_b32_e32 v7, s11
	v_lshl_add_u32 v6, v16, 3, v21
	v_add3_u32 v5, v5, v1, v0
	v_lshlrev_b64 v[4:5], 3, v[4:5]
	v_mov_b32_e32 v17, 0
	v_add_co_u32_e32 v8, vcc, s10, v4
	v_addc_co_u32_e32 v7, vcc, v7, v5, vcc
	v_lshlrev_b64 v[4:5], 3, v[12:13]
	ds_read2_b64 v[0:3], v6 offset1:28
	v_add_co_u32_e32 v8, vcc, v8, v4
	v_addc_co_u32_e32 v7, vcc, v7, v5, vcc
	v_lshlrev_b64 v[4:5], 3, v[16:17]
	v_add_co_u32_e32 v4, vcc, v8, v4
	v_addc_co_u32_e32 v5, vcc, v7, v5, vcc
	s_waitcnt lgkmcnt(0)
	global_store_dwordx2 v[4:5], v[0:1], off
	v_add_u32_e32 v0, 28, v16
	v_mov_b32_e32 v1, v17
	v_lshlrev_b64 v[0:1], 3, v[0:1]
	v_add_u32_e32 v4, 56, v16
	v_add_co_u32_e32 v0, vcc, v8, v0
	v_addc_co_u32_e32 v1, vcc, v7, v1, vcc
	global_store_dwordx2 v[0:1], v[2:3], off
	v_mov_b32_e32 v5, v17
	ds_read2_b64 v[0:3], v6 offset0:56 offset1:84
	v_lshlrev_b64 v[4:5], 3, v[4:5]
	v_add_co_u32_e32 v4, vcc, v8, v4
	v_addc_co_u32_e32 v5, vcc, v7, v5, vcc
	s_waitcnt lgkmcnt(0)
	global_store_dwordx2 v[4:5], v[0:1], off
	v_add_u32_e32 v0, 0x54, v16
	v_mov_b32_e32 v1, v17
	v_lshlrev_b64 v[0:1], 3, v[0:1]
	v_add_u32_e32 v16, 0x70, v16
	v_add_co_u32_e32 v0, vcc, v8, v0
	v_addc_co_u32_e32 v1, vcc, v7, v1, vcc
	global_store_dwordx2 v[0:1], v[2:3], off
	ds_read_b64 v[0:1], v6 offset:896
	v_lshlrev_b64 v[2:3], 3, v[16:17]
	v_add_co_u32_e32 v2, vcc, v8, v2
	v_addc_co_u32_e32 v3, vcc, v7, v3, vcc
	s_waitcnt lgkmcnt(0)
	global_store_dwordx2 v[2:3], v[0:1], off
.LBB0_29:
	s_endpgm
	.section	.rodata,"a",@progbits
	.p2align	6, 0x0
	.amdhsa_kernel fft_rtc_fwd_len140_factors_7_5_4_wgs_56_tpt_28_sp_op_CI_CI_unitstride_sbrr_C2R_dirReg
		.amdhsa_group_segment_fixed_size 0
		.amdhsa_private_segment_fixed_size 0
		.amdhsa_kernarg_size 104
		.amdhsa_user_sgpr_count 6
		.amdhsa_user_sgpr_private_segment_buffer 1
		.amdhsa_user_sgpr_dispatch_ptr 0
		.amdhsa_user_sgpr_queue_ptr 0
		.amdhsa_user_sgpr_kernarg_segment_ptr 1
		.amdhsa_user_sgpr_dispatch_id 0
		.amdhsa_user_sgpr_flat_scratch_init 0
		.amdhsa_user_sgpr_private_segment_size 0
		.amdhsa_uses_dynamic_stack 0
		.amdhsa_system_sgpr_private_segment_wavefront_offset 0
		.amdhsa_system_sgpr_workgroup_id_x 1
		.amdhsa_system_sgpr_workgroup_id_y 0
		.amdhsa_system_sgpr_workgroup_id_z 0
		.amdhsa_system_sgpr_workgroup_info 0
		.amdhsa_system_vgpr_workitem_id 0
		.amdhsa_next_free_vgpr 42
		.amdhsa_next_free_sgpr 28
		.amdhsa_reserve_vcc 1
		.amdhsa_reserve_flat_scratch 0
		.amdhsa_float_round_mode_32 0
		.amdhsa_float_round_mode_16_64 0
		.amdhsa_float_denorm_mode_32 3
		.amdhsa_float_denorm_mode_16_64 3
		.amdhsa_dx10_clamp 1
		.amdhsa_ieee_mode 1
		.amdhsa_fp16_overflow 0
		.amdhsa_exception_fp_ieee_invalid_op 0
		.amdhsa_exception_fp_denorm_src 0
		.amdhsa_exception_fp_ieee_div_zero 0
		.amdhsa_exception_fp_ieee_overflow 0
		.amdhsa_exception_fp_ieee_underflow 0
		.amdhsa_exception_fp_ieee_inexact 0
		.amdhsa_exception_int_div_zero 0
	.end_amdhsa_kernel
	.text
.Lfunc_end0:
	.size	fft_rtc_fwd_len140_factors_7_5_4_wgs_56_tpt_28_sp_op_CI_CI_unitstride_sbrr_C2R_dirReg, .Lfunc_end0-fft_rtc_fwd_len140_factors_7_5_4_wgs_56_tpt_28_sp_op_CI_CI_unitstride_sbrr_C2R_dirReg
                                        ; -- End function
	.section	.AMDGPU.csdata,"",@progbits
; Kernel info:
; codeLenInByte = 4116
; NumSgprs: 32
; NumVgprs: 42
; ScratchSize: 0
; MemoryBound: 0
; FloatMode: 240
; IeeeMode: 1
; LDSByteSize: 0 bytes/workgroup (compile time only)
; SGPRBlocks: 3
; VGPRBlocks: 10
; NumSGPRsForWavesPerEU: 32
; NumVGPRsForWavesPerEU: 42
; Occupancy: 5
; WaveLimiterHint : 1
; COMPUTE_PGM_RSRC2:SCRATCH_EN: 0
; COMPUTE_PGM_RSRC2:USER_SGPR: 6
; COMPUTE_PGM_RSRC2:TRAP_HANDLER: 0
; COMPUTE_PGM_RSRC2:TGID_X_EN: 1
; COMPUTE_PGM_RSRC2:TGID_Y_EN: 0
; COMPUTE_PGM_RSRC2:TGID_Z_EN: 0
; COMPUTE_PGM_RSRC2:TIDIG_COMP_CNT: 0
	.type	__hip_cuid_114535367bc4af64,@object ; @__hip_cuid_114535367bc4af64
	.section	.bss,"aw",@nobits
	.globl	__hip_cuid_114535367bc4af64
__hip_cuid_114535367bc4af64:
	.byte	0                               ; 0x0
	.size	__hip_cuid_114535367bc4af64, 1

	.ident	"AMD clang version 19.0.0git (https://github.com/RadeonOpenCompute/llvm-project roc-6.4.0 25133 c7fe45cf4b819c5991fe208aaa96edf142730f1d)"
	.section	".note.GNU-stack","",@progbits
	.addrsig
	.addrsig_sym __hip_cuid_114535367bc4af64
	.amdgpu_metadata
---
amdhsa.kernels:
  - .args:
      - .actual_access:  read_only
        .address_space:  global
        .offset:         0
        .size:           8
        .value_kind:     global_buffer
      - .offset:         8
        .size:           8
        .value_kind:     by_value
      - .actual_access:  read_only
        .address_space:  global
        .offset:         16
        .size:           8
        .value_kind:     global_buffer
      - .actual_access:  read_only
        .address_space:  global
        .offset:         24
        .size:           8
        .value_kind:     global_buffer
      - .actual_access:  read_only
        .address_space:  global
        .offset:         32
        .size:           8
        .value_kind:     global_buffer
      - .offset:         40
        .size:           8
        .value_kind:     by_value
      - .actual_access:  read_only
        .address_space:  global
        .offset:         48
        .size:           8
        .value_kind:     global_buffer
      - .actual_access:  read_only
        .address_space:  global
        .offset:         56
        .size:           8
        .value_kind:     global_buffer
      - .offset:         64
        .size:           4
        .value_kind:     by_value
      - .actual_access:  read_only
        .address_space:  global
        .offset:         72
        .size:           8
        .value_kind:     global_buffer
      - .actual_access:  read_only
        .address_space:  global
        .offset:         80
        .size:           8
        .value_kind:     global_buffer
      - .actual_access:  read_only
        .address_space:  global
        .offset:         88
        .size:           8
        .value_kind:     global_buffer
      - .actual_access:  write_only
        .address_space:  global
        .offset:         96
        .size:           8
        .value_kind:     global_buffer
    .group_segment_fixed_size: 0
    .kernarg_segment_align: 8
    .kernarg_segment_size: 104
    .language:       OpenCL C
    .language_version:
      - 2
      - 0
    .max_flat_workgroup_size: 56
    .name:           fft_rtc_fwd_len140_factors_7_5_4_wgs_56_tpt_28_sp_op_CI_CI_unitstride_sbrr_C2R_dirReg
    .private_segment_fixed_size: 0
    .sgpr_count:     32
    .sgpr_spill_count: 0
    .symbol:         fft_rtc_fwd_len140_factors_7_5_4_wgs_56_tpt_28_sp_op_CI_CI_unitstride_sbrr_C2R_dirReg.kd
    .uniform_work_group_size: 1
    .uses_dynamic_stack: false
    .vgpr_count:     42
    .vgpr_spill_count: 0
    .wavefront_size: 64
amdhsa.target:   amdgcn-amd-amdhsa--gfx906
amdhsa.version:
  - 1
  - 2
...

	.end_amdgpu_metadata
